;; amdgpu-corpus repo=zjin-lcf/HeCBench kind=compiled arch=gfx906 opt=O3
	.amdgcn_target "amdgcn-amd-amdhsa--gfx906"
	.amdhsa_code_object_version 6
	.text
	.protected	_Z5gaborPdjjdddddddd    ; -- Begin function _Z5gaborPdjjdddddddd
	.globl	_Z5gaborPdjjdddddddd
	.p2align	8
	.type	_Z5gaborPdjjdddddddd,@function
_Z5gaborPdjjdddddddd:                   ; @_Z5gaborPdjjdddddddd
; %bb.0:
	s_load_dword s0, s[4:5], 0x5c
	s_load_dwordx2 s[24:25], s[4:5], 0x8
	s_waitcnt lgkmcnt(0)
	s_lshr_b32 s1, s0, 16
	s_and_b32 s0, s0, 0xffff
	s_mul_i32 s6, s6, s0
	s_mul_i32 s7, s7, s1
	v_add_u32_e32 v0, s6, v0
	v_add_u32_e32 v13, s7, v1
	v_cmp_gt_u32_e32 vcc, s25, v0
	v_cmp_gt_u32_e64 s[0:1], s24, v13
	s_and_b64 s[0:1], vcc, s[0:1]
	s_and_saveexec_b64 s[2:3], s[0:1]
	s_cbranch_execz .LBB0_6
; %bb.1:
	s_load_dwordx16 s[8:23], s[4:5], 0x10
	v_cvt_f64_i32_e32 v[1:2], v13
	v_mov_b32_e32 v9, 0x54442d18
	v_mov_b32_e32 v10, 0x401921fb
	s_mov_b32 s0, 0
	s_waitcnt lgkmcnt(0)
	v_add_f64 v[5:6], v[1:2], -s[8:9]
	v_cvt_f64_i32_e32 v[1:2], v0
	s_mov_b32 s1, 0x41d00000
	s_mov_b32 s2, 0x54442d18
                                        ; implicit-def: $vgpr14
                                        ; implicit-def: $vgpr11_vgpr12
	v_add_f64 v[3:4], v[1:2], -s[10:11]
	v_mul_f64 v[1:2], s[14:15], v[5:6]
	v_fma_f64 v[7:8], s[12:13], v[3:4], -v[1:2]
	v_mul_f64 v[1:2], s[22:23], v[9:10]
                                        ; implicit-def: $vgpr9_vgpr10
	v_mul_f64 v[1:2], v[1:2], v[7:8]
	v_cmp_nlt_f64_e64 s[0:1], |v[1:2]|, s[0:1]
	s_and_saveexec_b64 s[6:7], s[0:1]
	s_xor_b64 s[0:1], exec, s[6:7]
	s_cbranch_execz .LBB0_3
; %bb.2:
	v_trig_preop_f64 v[9:10], |v[1:2]|, 0
	s_mov_b32 s6, 0
	s_mov_b32 s7, 0x7b000000
	s_movk_i32 s3, 0xff80
	v_ldexp_f64 v[14:15], |v[1:2]|, s3
	v_cmp_ge_f64_e64 vcc, |v[1:2]|, s[6:7]
	v_trig_preop_f64 v[11:12], |v[1:2]|, 1
	v_trig_preop_f64 v[16:17], |v[1:2]|, 2
	v_and_b32_e32 v18, 0x7fffffff, v2
	s_mov_b32 s6, 0
	s_mov_b32 s7, 0x7ff00000
	;; [unrolled: 1-line block ×3, first 2 shown]
	v_cndmask_b32_e32 v15, v18, v15, vcc
	v_cndmask_b32_e32 v14, v1, v14, vcc
	v_mul_f64 v[18:19], v[9:10], v[14:15]
	v_mul_f64 v[20:21], v[11:12], v[14:15]
	v_mul_f64 v[22:23], v[16:17], v[14:15]
	v_fma_f64 v[24:25], v[9:10], v[14:15], -v[18:19]
	v_fma_f64 v[11:12], v[11:12], v[14:15], -v[20:21]
	;; [unrolled: 1-line block ×3, first 2 shown]
	v_add_f64 v[14:15], v[20:21], v[24:25]
	v_add_f64 v[16:17], v[14:15], -v[20:21]
	v_add_f64 v[24:25], v[24:25], -v[16:17]
	;; [unrolled: 1-line block ×4, first 2 shown]
	v_add_f64 v[20:21], v[22:23], v[11:12]
	v_add_f64 v[16:17], v[24:25], v[16:17]
	v_add_f64 v[26:27], v[20:21], -v[22:23]
	v_add_f64 v[24:25], v[18:19], v[14:15]
	v_add_f64 v[11:12], v[11:12], -v[26:27]
	v_add_f64 v[26:27], v[20:21], -v[26:27]
	v_add_f64 v[18:19], v[24:25], -v[18:19]
	v_add_f64 v[22:23], v[22:23], -v[26:27]
	v_add_f64 v[14:15], v[14:15], -v[18:19]
	v_add_f64 v[18:19], v[20:21], v[16:17]
	v_add_f64 v[11:12], v[11:12], v[22:23]
	v_add_f64 v[22:23], v[18:19], -v[20:21]
	v_add_f64 v[16:17], v[16:17], -v[22:23]
	;; [unrolled: 1-line block ×4, first 2 shown]
	v_ldexp_f64 v[22:23], v[24:25], -2
	v_add_f64 v[16:17], v[16:17], v[20:21]
	v_cmp_neq_f64_e64 vcc, |v[22:23]|, s[6:7]
	v_fract_f64_e32 v[22:23], v[22:23]
	v_add_f64 v[20:21], v[14:15], v[18:19]
	s_mov_b32 s6, 0x33145c07
	s_mov_b32 s7, 0x3c91a626
	v_add_f64 v[11:12], v[11:12], v[16:17]
	v_mov_b32_e32 v16, 0
	v_ldexp_f64 v[22:23], v[22:23], 2
	v_add_f64 v[14:15], v[20:21], -v[14:15]
	v_add_f64 v[9:10], v[9:10], v[11:12]
	v_cndmask_b32_e32 v23, 0, v23, vcc
	v_cndmask_b32_e32 v22, 0, v22, vcc
	v_add_f64 v[24:25], v[20:21], v[22:23]
	v_add_f64 v[14:15], v[18:19], -v[14:15]
	v_cmp_gt_f64_e32 vcc, 0, v[24:25]
	v_mov_b32_e32 v24, 0x40100000
	v_add_f64 v[9:10], v[14:15], v[9:10]
	v_mov_b32_e32 v14, 0x3ff00000
	v_cndmask_b32_e32 v17, 0, v24, vcc
	v_add_f64 v[22:23], v[22:23], v[16:17]
	v_add_f64 v[24:25], v[20:21], v[22:23]
	v_cvt_i32_f64_e32 v26, v[24:25]
	v_cvt_f64_i32_e32 v[24:25], v26
	v_add_f64 v[22:23], v[22:23], -v[24:25]
	v_add_f64 v[18:19], v[20:21], v[22:23]
	v_add_f64 v[11:12], v[18:19], -v[22:23]
	v_cmp_le_f64_e32 vcc, 0.5, v[18:19]
	v_add_f64 v[11:12], v[20:21], -v[11:12]
	v_cndmask_b32_e32 v17, 0, v14, vcc
	v_add_f64 v[9:10], v[9:10], v[11:12]
	v_add_f64 v[11:12], v[18:19], -v[16:17]
	v_add_f64 v[14:15], v[11:12], v[9:10]
	v_mul_f64 v[16:17], v[14:15], s[2:3]
	v_add_f64 v[11:12], v[14:15], -v[11:12]
	v_fma_f64 v[18:19], v[14:15], s[2:3], -v[16:17]
	v_add_f64 v[9:10], v[9:10], -v[11:12]
	v_fma_f64 v[11:12], v[14:15], s[6:7], v[18:19]
	v_fma_f64 v[11:12], v[9:10], s[2:3], v[11:12]
	v_add_f64 v[9:10], v[16:17], v[11:12]
	v_add_f64 v[14:15], v[9:10], -v[16:17]
	v_add_f64 v[11:12], v[11:12], -v[14:15]
	v_addc_co_u32_e32 v14, vcc, 0, v26, vcc
.LBB0_3:
	s_andn2_saveexec_b64 s[0:1], s[0:1]
	s_cbranch_execz .LBB0_5
; %bb.4:
	s_mov_b32 s2, 0x6dc9c883
	s_mov_b32 s3, 0x3fe45f30
	v_mul_f64 v[9:10], |v[1:2]|, s[2:3]
	s_mov_b32 s2, 0x54442d18
	s_mov_b32 s3, 0xbff921fb
	;; [unrolled: 1-line block ×4, first 2 shown]
	v_rndne_f64_e32 v[14:15], v[9:10]
	v_fma_f64 v[9:10], v[14:15], s[2:3], |v[1:2]|
	v_mul_f64 v[11:12], v[14:15], s[6:7]
	s_mov_b32 s2, 0x252049c0
	s_mov_b32 s3, 0xb97b839a
	v_fma_f64 v[20:21], v[14:15], s[6:7], v[9:10]
	v_add_f64 v[16:17], v[9:10], v[11:12]
	s_mov_b32 s7, 0x3c91a626
	v_add_f64 v[18:19], v[9:10], -v[16:17]
	v_add_f64 v[16:17], v[16:17], -v[20:21]
	v_add_f64 v[9:10], v[18:19], v[11:12]
	v_fma_f64 v[11:12], v[14:15], s[6:7], v[11:12]
	v_add_f64 v[9:10], v[16:17], v[9:10]
	v_add_f64 v[9:10], v[9:10], -v[11:12]
	v_fma_f64 v[11:12], v[14:15], s[2:3], v[9:10]
	v_cvt_i32_f64_e32 v14, v[14:15]
	v_add_f64 v[9:10], v[20:21], v[11:12]
	v_add_f64 v[16:17], v[9:10], -v[20:21]
	v_add_f64 v[11:12], v[11:12], -v[16:17]
.LBB0_5:
	s_or_b64 exec, exec, s[0:1]
	v_mul_f64 v[5:6], s[12:13], v[5:6]
	v_mul_f64 v[7:8], v[7:8], v[7:8]
	s_mov_b32 s2, 0xf9a43bb8
	s_mov_b32 s3, 0x3de5e0b2
	s_load_dwordx2 s[6:7], s[4:5], 0x0
	s_movk_i32 s4, 0x1f8
	v_cmp_class_f64_e64 s[4:5], v[1:2], s4
	v_fma_f64 v[3:4], s[14:15], v[3:4], v[5:6]
	v_div_scale_f64 v[5:6], s[0:1], s[18:19], s[18:19], v[7:8]
	v_mul_f64 v[3:4], v[3:4], v[3:4]
	v_div_scale_f64 v[15:16], s[0:1], s[20:21], s[20:21], v[3:4]
	v_rcp_f64_e32 v[17:18], v[5:6]
	v_div_scale_f64 v[25:26], s[0:1], v[3:4], s[20:21], v[3:4]
	v_rcp_f64_e32 v[19:20], v[15:16]
	v_fma_f64 v[21:22], -v[5:6], v[17:18], 1.0
	v_fma_f64 v[17:18], v[17:18], v[21:22], v[17:18]
	v_fma_f64 v[21:22], -v[15:16], v[19:20], 1.0
	v_fma_f64 v[23:24], -v[5:6], v[17:18], 1.0
	v_fma_f64 v[19:20], v[19:20], v[21:22], v[19:20]
	v_div_scale_f64 v[21:22], vcc, v[7:8], s[18:19], v[7:8]
	v_fma_f64 v[17:18], v[17:18], v[23:24], v[17:18]
	v_fma_f64 v[23:24], -v[15:16], v[19:20], 1.0
	v_fma_f64 v[19:20], v[19:20], v[23:24], v[19:20]
	v_mul_f64 v[23:24], v[21:22], v[17:18]
	v_fma_f64 v[5:6], -v[5:6], v[23:24], v[21:22]
	v_mul_f64 v[21:22], v[25:26], v[19:20]
	v_div_fmas_f64 v[5:6], v[5:6], v[17:18], v[23:24]
	v_fma_f64 v[15:16], -v[15:16], v[21:22], v[25:26]
	s_mov_b64 vcc, s[0:1]
	s_mov_b32 s0, 0x652b82fe
	s_mov_b32 s1, 0x3ff71547
	v_mul_f64 v[17:18], v[9:10], v[9:10]
	v_div_fmas_f64 v[15:16], v[15:16], v[19:20], v[21:22]
	v_mov_b32_e32 v19, 0xb42fdfa7
	v_mov_b32_e32 v20, 0xbe5ae600
	v_mul_f64 v[21:22], v[17:18], -0.5
	v_fma_f64 v[19:20], v[17:18], s[2:3], v[19:20]
	s_mov_b32 s2, 0x796cde01
	v_div_fixup_f64 v[5:6], v[5:6], s[18:19], v[7:8]
	s_mov_b32 s3, 0x3ec71de3
	v_mul_f64 v[27:28], v[9:10], -v[17:18]
	v_add_f64 v[23:24], v[21:22], 1.0
	v_fma_f64 v[19:20], v[17:18], v[19:20], s[2:3]
	s_mov_b32 s2, 0x19e83e5c
	s_mov_b32 s3, 0xbf2a01a0
	v_div_fixup_f64 v[3:4], v[15:16], s[20:21], v[3:4]
	v_mov_b32_e32 v15, 0xfca7ab0c
	v_mov_b32_e32 v16, 0x3e928af3
	v_add_f64 v[25:26], -v[23:24], 1.0
	v_fma_f64 v[19:20], v[17:18], v[19:20], s[2:3]
	s_mov_b32 s2, 0xa17f65f6
	s_mov_b32 s3, 0xbe927e4f
	v_add_f64 v[3:4], v[5:6], v[3:4]
	v_add_f64 v[21:22], v[25:26], v[21:22]
	v_mul_f64 v[25:26], v[11:12], 0.5
	v_mul_f64 v[3:4], v[3:4], -0.5
	v_fma_f64 v[21:22], v[9:10], -v[11:12], v[21:22]
	v_mul_f64 v[5:6], v[3:4], s[0:1]
	s_mov_b32 s0, 0xfefa39ef
	s_mov_b32 s1, 0xbfe62e42
	v_rndne_f64_e32 v[5:6], v[5:6]
	v_fma_f64 v[7:8], v[5:6], s[0:1], v[3:4]
	s_mov_b32 s0, 0x3b39803f
	s_mov_b32 s1, 0xbc7abc9e
	v_fma_f64 v[7:8], v[5:6], s[0:1], v[7:8]
	s_mov_b32 s0, 0x6a5dcb37
	s_mov_b32 s1, 0x3e5ade15
	;; [unrolled: 3-line block ×7, first 2 shown]
	v_fma_f64 v[15:16], v[7:8], v[15:16], s[0:1]
	s_mov_b32 s0, 0x11110bb3
	v_fma_f64 v[19:20], v[17:18], v[19:20], s[0:1]
	s_mov_b32 s0, 0x46cc5e42
	s_mov_b32 s1, 0xbda907db
	v_fma_f64 v[19:20], v[27:28], v[19:20], v[25:26]
	v_fma_f64 v[11:12], v[17:18], v[19:20], -v[11:12]
	v_mov_b32_e32 v19, 0x9037ab78
	v_mov_b32_e32 v20, 0x3e21eeb6
	v_fma_f64 v[19:20], v[17:18], s[0:1], v[19:20]
	s_mov_b32 s1, 0x3fa55555
	s_mov_b32 s0, 0x555502a1
	v_fma_f64 v[15:16], v[7:8], v[15:16], s[0:1]
	s_mov_b32 s0, 0x55555555
	v_fma_f64 v[19:20], v[17:18], v[19:20], s[2:3]
	s_mov_b32 s2, 0x55555511
	s_mov_b32 s3, 0x3fc55555
	v_fma_f64 v[15:16], v[7:8], v[15:16], s[2:3]
	s_mov_b32 s2, 0x19f4ec90
	;; [unrolled: 3-line block ×5, first 2 shown]
	s_mov_b32 s3, 0xc090cc00
	v_fma_f64 v[15:16], v[7:8], v[15:16], 1.0
	v_fma_f64 v[19:20], v[17:18], v[19:20], s[0:1]
	v_mul_f64 v[17:18], v[17:18], v[17:18]
	s_mov_b32 s1, 0xbfc55555
	v_fma_f64 v[7:8], v[7:8], v[15:16], 1.0
	v_cvt_i32_f64_e32 v15, v[5:6]
	v_fma_f64 v[5:6], v[27:28], s[0:1], v[11:12]
	s_mov_b32 s0, 0
	s_mov_b32 s1, 0x40900000
	v_cmp_nlt_f64_e32 vcc, s[0:1], v[3:4]
	v_fma_f64 v[11:12], v[17:18], v[19:20], v[21:22]
	v_cmp_ngt_f64_e64 s[0:1], s[2:3], v[3:4]
	v_ldexp_f64 v[7:8], v[7:8], v15
	v_mov_b32_e32 v16, 0x7ff00000
	v_add_f64 v[5:6], v[9:10], -v[5:6]
	v_add_f64 v[9:10], v[23:24], v[11:12]
	v_and_b32_e32 v11, 1, v14
	v_cndmask_b32_e32 v8, v16, v8, vcc
	s_and_b64 vcc, s[0:1], vcc
	v_cndmask_b32_e64 v2, 0, v8, s[0:1]
	v_cndmask_b32_e32 v1, 0, v7, vcc
	v_mul_f64 v[1:2], s[16:17], v[1:2]
	v_cmp_eq_u32_e64 s[2:3], 0, v11
	v_xor_b32_e32 v3, 0x80000000, v6
	v_cndmask_b32_e64 v4, v5, v9, s[2:3]
	v_lshlrev_b32_e32 v5, 30, v14
	v_cndmask_b32_e64 v3, v3, v10, s[2:3]
	v_and_b32_e32 v5, 0x80000000, v5
	v_xor_b32_e32 v7, v3, v5
	v_cndmask_b32_e64 v3, 0, v4, s[4:5]
	v_mov_b32_e32 v4, 0x7ff80000
	v_cndmask_b32_e64 v4, v4, v7, s[4:5]
	v_mad_u64_u32 v[5:6], s[0:1], v13, s25, v[0:1]
	v_mul_f64 v[0:1], v[1:2], v[3:4]
	v_mov_b32_e32 v6, 0
	v_lshlrev_b64 v[2:3], 3, v[5:6]
	s_waitcnt lgkmcnt(0)
	v_mov_b32_e32 v4, s7
	v_add_co_u32_e32 v2, vcc, s6, v2
	v_addc_co_u32_e32 v3, vcc, v4, v3, vcc
	global_store_dwordx2 v[2:3], v[0:1], off
.LBB0_6:
	s_endpgm
	.section	.rodata,"a",@progbits
	.p2align	6, 0x0
	.amdhsa_kernel _Z5gaborPdjjdddddddd
		.amdhsa_group_segment_fixed_size 0
		.amdhsa_private_segment_fixed_size 0
		.amdhsa_kernarg_size 336
		.amdhsa_user_sgpr_count 6
		.amdhsa_user_sgpr_private_segment_buffer 1
		.amdhsa_user_sgpr_dispatch_ptr 0
		.amdhsa_user_sgpr_queue_ptr 0
		.amdhsa_user_sgpr_kernarg_segment_ptr 1
		.amdhsa_user_sgpr_dispatch_id 0
		.amdhsa_user_sgpr_flat_scratch_init 0
		.amdhsa_user_sgpr_private_segment_size 0
		.amdhsa_uses_dynamic_stack 0
		.amdhsa_system_sgpr_private_segment_wavefront_offset 0
		.amdhsa_system_sgpr_workgroup_id_x 1
		.amdhsa_system_sgpr_workgroup_id_y 1
		.amdhsa_system_sgpr_workgroup_id_z 0
		.amdhsa_system_sgpr_workgroup_info 0
		.amdhsa_system_vgpr_workitem_id 1
		.amdhsa_next_free_vgpr 29
		.amdhsa_next_free_sgpr 26
		.amdhsa_reserve_vcc 1
		.amdhsa_reserve_flat_scratch 0
		.amdhsa_float_round_mode_32 0
		.amdhsa_float_round_mode_16_64 0
		.amdhsa_float_denorm_mode_32 3
		.amdhsa_float_denorm_mode_16_64 3
		.amdhsa_dx10_clamp 1
		.amdhsa_ieee_mode 1
		.amdhsa_fp16_overflow 0
		.amdhsa_exception_fp_ieee_invalid_op 0
		.amdhsa_exception_fp_denorm_src 0
		.amdhsa_exception_fp_ieee_div_zero 0
		.amdhsa_exception_fp_ieee_overflow 0
		.amdhsa_exception_fp_ieee_underflow 0
		.amdhsa_exception_fp_ieee_inexact 0
		.amdhsa_exception_int_div_zero 0
	.end_amdhsa_kernel
	.text
.Lfunc_end0:
	.size	_Z5gaborPdjjdddddddd, .Lfunc_end0-_Z5gaborPdjjdddddddd
                                        ; -- End function
	.set _Z5gaborPdjjdddddddd.num_vgpr, 29
	.set _Z5gaborPdjjdddddddd.num_agpr, 0
	.set _Z5gaborPdjjdddddddd.numbered_sgpr, 26
	.set _Z5gaborPdjjdddddddd.num_named_barrier, 0
	.set _Z5gaborPdjjdddddddd.private_seg_size, 0
	.set _Z5gaborPdjjdddddddd.uses_vcc, 1
	.set _Z5gaborPdjjdddddddd.uses_flat_scratch, 0
	.set _Z5gaborPdjjdddddddd.has_dyn_sized_stack, 0
	.set _Z5gaborPdjjdddddddd.has_recursion, 0
	.set _Z5gaborPdjjdddddddd.has_indirect_call, 0
	.section	.AMDGPU.csdata,"",@progbits
; Kernel info:
; codeLenInByte = 2152
; TotalNumSgprs: 30
; NumVgprs: 29
; ScratchSize: 0
; MemoryBound: 0
; FloatMode: 240
; IeeeMode: 1
; LDSByteSize: 0 bytes/workgroup (compile time only)
; SGPRBlocks: 3
; VGPRBlocks: 7
; NumSGPRsForWavesPerEU: 30
; NumVGPRsForWavesPerEU: 29
; Occupancy: 8
; WaveLimiterHint : 0
; COMPUTE_PGM_RSRC2:SCRATCH_EN: 0
; COMPUTE_PGM_RSRC2:USER_SGPR: 6
; COMPUTE_PGM_RSRC2:TRAP_HANDLER: 0
; COMPUTE_PGM_RSRC2:TGID_X_EN: 1
; COMPUTE_PGM_RSRC2:TGID_Y_EN: 1
; COMPUTE_PGM_RSRC2:TGID_Z_EN: 0
; COMPUTE_PGM_RSRC2:TIDIG_COMP_CNT: 1
	.section	.AMDGPU.gpr_maximums,"",@progbits
	.set amdgpu.max_num_vgpr, 0
	.set amdgpu.max_num_agpr, 0
	.set amdgpu.max_num_sgpr, 0
	.section	.AMDGPU.csdata,"",@progbits
	.type	__hip_cuid_38e709414ff15324,@object ; @__hip_cuid_38e709414ff15324
	.section	.bss,"aw",@nobits
	.globl	__hip_cuid_38e709414ff15324
__hip_cuid_38e709414ff15324:
	.byte	0                               ; 0x0
	.size	__hip_cuid_38e709414ff15324, 1

	.ident	"AMD clang version 22.0.0git (https://github.com/RadeonOpenCompute/llvm-project roc-7.2.4 26084 f58b06dce1f9c15707c5f808fd002e18c2accf7e)"
	.section	".note.GNU-stack","",@progbits
	.addrsig
	.addrsig_sym __hip_cuid_38e709414ff15324
	.amdgpu_metadata
---
amdhsa.kernels:
  - .args:
      - .address_space:  global
        .offset:         0
        .size:           8
        .value_kind:     global_buffer
      - .offset:         8
        .size:           4
        .value_kind:     by_value
      - .offset:         12
        .size:           4
        .value_kind:     by_value
      - .offset:         16
        .size:           8
        .value_kind:     by_value
      - .offset:         24
        .size:           8
        .value_kind:     by_value
      - .offset:         32
        .size:           8
        .value_kind:     by_value
      - .offset:         40
        .size:           8
        .value_kind:     by_value
      - .offset:         48
        .size:           8
        .value_kind:     by_value
      - .offset:         56
        .size:           8
        .value_kind:     by_value
      - .offset:         64
        .size:           8
        .value_kind:     by_value
      - .offset:         72
        .size:           8
        .value_kind:     by_value
      - .offset:         80
        .size:           4
        .value_kind:     hidden_block_count_x
      - .offset:         84
        .size:           4
        .value_kind:     hidden_block_count_y
      - .offset:         88
        .size:           4
        .value_kind:     hidden_block_count_z
      - .offset:         92
        .size:           2
        .value_kind:     hidden_group_size_x
      - .offset:         94
        .size:           2
        .value_kind:     hidden_group_size_y
      - .offset:         96
        .size:           2
        .value_kind:     hidden_group_size_z
      - .offset:         98
        .size:           2
        .value_kind:     hidden_remainder_x
      - .offset:         100
        .size:           2
        .value_kind:     hidden_remainder_y
      - .offset:         102
        .size:           2
        .value_kind:     hidden_remainder_z
      - .offset:         120
        .size:           8
        .value_kind:     hidden_global_offset_x
      - .offset:         128
        .size:           8
        .value_kind:     hidden_global_offset_y
      - .offset:         136
        .size:           8
        .value_kind:     hidden_global_offset_z
      - .offset:         144
        .size:           2
        .value_kind:     hidden_grid_dims
    .group_segment_fixed_size: 0
    .kernarg_segment_align: 8
    .kernarg_segment_size: 336
    .language:       OpenCL C
    .language_version:
      - 2
      - 0
    .max_flat_workgroup_size: 1024
    .name:           _Z5gaborPdjjdddddddd
    .private_segment_fixed_size: 0
    .sgpr_count:     30
    .sgpr_spill_count: 0
    .symbol:         _Z5gaborPdjjdddddddd.kd
    .uniform_work_group_size: 1
    .uses_dynamic_stack: false
    .vgpr_count:     29
    .vgpr_spill_count: 0
    .wavefront_size: 64
amdhsa.target:   amdgcn-amd-amdhsa--gfx906
amdhsa.version:
  - 1
  - 2
...

	.end_amdgpu_metadata
